;; amdgpu-corpus repo=ROCm/rocFFT kind=compiled arch=gfx906 opt=O3
	.text
	.amdgcn_target "amdgcn-amd-amdhsa--gfx906"
	.amdhsa_code_object_version 6
	.protected	fft_rtc_fwd_len800_factors_16_5_10_wgs_160_tpt_160_halfLds_half_op_CI_CI_sbrr_dirReg ; -- Begin function fft_rtc_fwd_len800_factors_16_5_10_wgs_160_tpt_160_halfLds_half_op_CI_CI_sbrr_dirReg
	.globl	fft_rtc_fwd_len800_factors_16_5_10_wgs_160_tpt_160_halfLds_half_op_CI_CI_sbrr_dirReg
	.p2align	8
	.type	fft_rtc_fwd_len800_factors_16_5_10_wgs_160_tpt_160_halfLds_half_op_CI_CI_sbrr_dirReg,@function
fft_rtc_fwd_len800_factors_16_5_10_wgs_160_tpt_160_halfLds_half_op_CI_CI_sbrr_dirReg: ; @fft_rtc_fwd_len800_factors_16_5_10_wgs_160_tpt_160_halfLds_half_op_CI_CI_sbrr_dirReg
; %bb.0:
	s_load_dwordx4 s[16:19], s[4:5], 0x18
	s_load_dwordx4 s[12:15], s[4:5], 0x0
	;; [unrolled: 1-line block ×3, first 2 shown]
	v_mul_u32_u24_e32 v1, 0x19a, v0
	v_mov_b32_e32 v7, 0
	s_waitcnt lgkmcnt(0)
	s_load_dwordx2 s[22:23], s[16:17], 0x0
	s_load_dwordx2 s[20:21], s[18:19], 0x0
	v_cmp_lt_u64_e64 s[0:1], s[14:15], 2
	v_mov_b32_e32 v5, 0
	v_add_u32_sdwa v9, s6, v1 dst_sel:DWORD dst_unused:UNUSED_PAD src0_sel:DWORD src1_sel:WORD_1
	v_mov_b32_e32 v10, v7
	s_and_b64 vcc, exec, s[0:1]
	v_mov_b32_e32 v6, 0
	s_cbranch_vccnz .LBB0_8
; %bb.1:
	s_load_dwordx2 s[0:1], s[4:5], 0x10
	s_add_u32 s2, s18, 8
	s_addc_u32 s3, s19, 0
	s_add_u32 s6, s16, 8
	s_addc_u32 s7, s17, 0
	v_mov_b32_e32 v5, 0
	s_waitcnt lgkmcnt(0)
	s_add_u32 s24, s0, 8
	v_mov_b32_e32 v6, 0
	v_mov_b32_e32 v1, v5
	s_addc_u32 s25, s1, 0
	s_mov_b64 s[26:27], 1
	v_mov_b32_e32 v2, v6
.LBB0_2:                                ; =>This Inner Loop Header: Depth=1
	s_load_dwordx2 s[28:29], s[24:25], 0x0
                                        ; implicit-def: $vgpr3_vgpr4
	s_waitcnt lgkmcnt(0)
	v_or_b32_e32 v8, s29, v10
	v_cmp_ne_u64_e32 vcc, 0, v[7:8]
	s_and_saveexec_b64 s[0:1], vcc
	s_xor_b64 s[30:31], exec, s[0:1]
	s_cbranch_execz .LBB0_4
; %bb.3:                                ;   in Loop: Header=BB0_2 Depth=1
	v_cvt_f32_u32_e32 v3, s28
	v_cvt_f32_u32_e32 v4, s29
	s_sub_u32 s0, 0, s28
	s_subb_u32 s1, 0, s29
	v_mac_f32_e32 v3, 0x4f800000, v4
	v_rcp_f32_e32 v3, v3
	v_mul_f32_e32 v3, 0x5f7ffffc, v3
	v_mul_f32_e32 v4, 0x2f800000, v3
	v_trunc_f32_e32 v4, v4
	v_mac_f32_e32 v3, 0xcf800000, v4
	v_cvt_u32_f32_e32 v4, v4
	v_cvt_u32_f32_e32 v3, v3
	v_mul_lo_u32 v8, s0, v4
	v_mul_hi_u32 v11, s0, v3
	v_mul_lo_u32 v13, s1, v3
	v_mul_lo_u32 v12, s0, v3
	v_add_u32_e32 v8, v11, v8
	v_add_u32_e32 v8, v8, v13
	v_mul_hi_u32 v11, v3, v12
	v_mul_lo_u32 v13, v3, v8
	v_mul_hi_u32 v15, v3, v8
	v_mul_hi_u32 v14, v4, v12
	v_mul_lo_u32 v12, v4, v12
	v_mul_hi_u32 v16, v4, v8
	v_add_co_u32_e32 v11, vcc, v11, v13
	v_addc_co_u32_e32 v13, vcc, 0, v15, vcc
	v_mul_lo_u32 v8, v4, v8
	v_add_co_u32_e32 v11, vcc, v11, v12
	v_addc_co_u32_e32 v11, vcc, v13, v14, vcc
	v_addc_co_u32_e32 v12, vcc, 0, v16, vcc
	v_add_co_u32_e32 v8, vcc, v11, v8
	v_addc_co_u32_e32 v11, vcc, 0, v12, vcc
	v_add_co_u32_e32 v3, vcc, v3, v8
	v_addc_co_u32_e32 v4, vcc, v4, v11, vcc
	v_mul_lo_u32 v8, s0, v4
	v_mul_hi_u32 v11, s0, v3
	v_mul_lo_u32 v12, s1, v3
	v_mul_lo_u32 v13, s0, v3
	v_add_u32_e32 v8, v11, v8
	v_add_u32_e32 v8, v8, v12
	v_mul_lo_u32 v14, v3, v8
	v_mul_hi_u32 v15, v3, v13
	v_mul_hi_u32 v16, v3, v8
	;; [unrolled: 1-line block ×3, first 2 shown]
	v_mul_lo_u32 v13, v4, v13
	v_mul_hi_u32 v11, v4, v8
	v_add_co_u32_e32 v14, vcc, v15, v14
	v_addc_co_u32_e32 v15, vcc, 0, v16, vcc
	v_mul_lo_u32 v8, v4, v8
	v_add_co_u32_e32 v13, vcc, v14, v13
	v_addc_co_u32_e32 v12, vcc, v15, v12, vcc
	v_addc_co_u32_e32 v11, vcc, 0, v11, vcc
	v_add_co_u32_e32 v8, vcc, v12, v8
	v_addc_co_u32_e32 v11, vcc, 0, v11, vcc
	v_add_co_u32_e32 v8, vcc, v3, v8
	v_addc_co_u32_e32 v11, vcc, v4, v11, vcc
	v_mad_u64_u32 v[3:4], s[0:1], v9, v11, 0
	v_mul_hi_u32 v12, v9, v8
	v_add_co_u32_e32 v13, vcc, v12, v3
	v_addc_co_u32_e32 v14, vcc, 0, v4, vcc
	v_mad_u64_u32 v[3:4], s[0:1], v10, v8, 0
	v_mad_u64_u32 v[11:12], s[0:1], v10, v11, 0
	v_add_co_u32_e32 v3, vcc, v13, v3
	v_addc_co_u32_e32 v3, vcc, v14, v4, vcc
	v_addc_co_u32_e32 v4, vcc, 0, v12, vcc
	v_add_co_u32_e32 v8, vcc, v3, v11
	v_addc_co_u32_e32 v11, vcc, 0, v4, vcc
	v_mul_lo_u32 v12, s29, v8
	v_mul_lo_u32 v13, s28, v11
	v_mad_u64_u32 v[3:4], s[0:1], s28, v8, 0
	v_add3_u32 v4, v4, v13, v12
	v_sub_u32_e32 v12, v10, v4
	v_mov_b32_e32 v13, s29
	v_sub_co_u32_e32 v3, vcc, v9, v3
	v_subb_co_u32_e64 v12, s[0:1], v12, v13, vcc
	v_subrev_co_u32_e64 v13, s[0:1], s28, v3
	v_subbrev_co_u32_e64 v12, s[0:1], 0, v12, s[0:1]
	v_cmp_le_u32_e64 s[0:1], s29, v12
	v_cndmask_b32_e64 v14, 0, -1, s[0:1]
	v_cmp_le_u32_e64 s[0:1], s28, v13
	v_cndmask_b32_e64 v13, 0, -1, s[0:1]
	v_cmp_eq_u32_e64 s[0:1], s29, v12
	v_cndmask_b32_e64 v12, v14, v13, s[0:1]
	v_add_co_u32_e64 v13, s[0:1], 2, v8
	v_addc_co_u32_e64 v14, s[0:1], 0, v11, s[0:1]
	v_add_co_u32_e64 v15, s[0:1], 1, v8
	v_addc_co_u32_e64 v16, s[0:1], 0, v11, s[0:1]
	v_subb_co_u32_e32 v4, vcc, v10, v4, vcc
	v_cmp_ne_u32_e64 s[0:1], 0, v12
	v_cmp_le_u32_e32 vcc, s29, v4
	v_cndmask_b32_e64 v12, v16, v14, s[0:1]
	v_cndmask_b32_e64 v14, 0, -1, vcc
	v_cmp_le_u32_e32 vcc, s28, v3
	v_cndmask_b32_e64 v3, 0, -1, vcc
	v_cmp_eq_u32_e32 vcc, s29, v4
	v_cndmask_b32_e32 v3, v14, v3, vcc
	v_cmp_ne_u32_e32 vcc, 0, v3
	v_cndmask_b32_e64 v3, v15, v13, s[0:1]
	v_cndmask_b32_e32 v4, v11, v12, vcc
	v_cndmask_b32_e32 v3, v8, v3, vcc
.LBB0_4:                                ;   in Loop: Header=BB0_2 Depth=1
	s_andn2_saveexec_b64 s[0:1], s[30:31]
	s_cbranch_execz .LBB0_6
; %bb.5:                                ;   in Loop: Header=BB0_2 Depth=1
	v_cvt_f32_u32_e32 v3, s28
	s_sub_i32 s30, 0, s28
	v_rcp_iflag_f32_e32 v3, v3
	v_mul_f32_e32 v3, 0x4f7ffffe, v3
	v_cvt_u32_f32_e32 v3, v3
	v_mul_lo_u32 v4, s30, v3
	v_mul_hi_u32 v4, v3, v4
	v_add_u32_e32 v3, v3, v4
	v_mul_hi_u32 v3, v9, v3
	v_mul_lo_u32 v4, v3, s28
	v_add_u32_e32 v8, 1, v3
	v_sub_u32_e32 v4, v9, v4
	v_subrev_u32_e32 v11, s28, v4
	v_cmp_le_u32_e32 vcc, s28, v4
	v_cndmask_b32_e32 v4, v4, v11, vcc
	v_cndmask_b32_e32 v3, v3, v8, vcc
	v_add_u32_e32 v8, 1, v3
	v_cmp_le_u32_e32 vcc, s28, v4
	v_cndmask_b32_e32 v3, v3, v8, vcc
	v_mov_b32_e32 v4, v7
.LBB0_6:                                ;   in Loop: Header=BB0_2 Depth=1
	s_or_b64 exec, exec, s[0:1]
	v_mul_lo_u32 v8, v4, s28
	v_mul_lo_u32 v13, v3, s29
	v_mad_u64_u32 v[11:12], s[0:1], v3, s28, 0
	s_load_dwordx2 s[0:1], s[6:7], 0x0
	s_load_dwordx2 s[28:29], s[2:3], 0x0
	v_add3_u32 v8, v12, v13, v8
	v_sub_co_u32_e32 v9, vcc, v9, v11
	v_subb_co_u32_e32 v8, vcc, v10, v8, vcc
	s_waitcnt lgkmcnt(0)
	v_mul_lo_u32 v10, s0, v8
	v_mul_lo_u32 v11, s1, v9
	v_mad_u64_u32 v[5:6], s[0:1], s0, v9, v[5:6]
	v_mul_lo_u32 v8, s28, v8
	v_mul_lo_u32 v12, s29, v9
	v_mad_u64_u32 v[1:2], s[0:1], s28, v9, v[1:2]
	s_add_u32 s26, s26, 1
	s_addc_u32 s27, s27, 0
	s_add_u32 s2, s2, 8
	v_add3_u32 v2, v12, v2, v8
	s_addc_u32 s3, s3, 0
	v_mov_b32_e32 v8, s14
	s_add_u32 s6, s6, 8
	v_mov_b32_e32 v9, s15
	s_addc_u32 s7, s7, 0
	v_cmp_ge_u64_e32 vcc, s[26:27], v[8:9]
	s_add_u32 s24, s24, 8
	v_add3_u32 v6, v11, v6, v10
	s_addc_u32 s25, s25, 0
	s_cbranch_vccnz .LBB0_9
; %bb.7:                                ;   in Loop: Header=BB0_2 Depth=1
	v_mov_b32_e32 v10, v4
	v_mov_b32_e32 v9, v3
	s_branch .LBB0_2
.LBB0_8:
	v_mov_b32_e32 v1, v5
	v_mov_b32_e32 v3, v9
	;; [unrolled: 1-line block ×4, first 2 shown]
.LBB0_9:
	s_load_dwordx2 s[0:1], s[4:5], 0x28
	s_mov_b32 s4, 0x199999a
	v_mul_hi_u32 v7, v0, s4
	s_lshl_b64 s[2:3], s[14:15], 3
	s_add_u32 s4, s18, s2
	s_waitcnt lgkmcnt(0)
	v_cmp_gt_u64_e32 vcc, s[0:1], v[3:4]
	v_mul_u32_u24_e32 v7, 0xa0, v7
	v_sub_u32_e32 v0, v0, v7
	v_cmp_gt_u32_e64 s[0:1], 50, v0
	s_addc_u32 s5, s19, s3
	s_and_b64 s[14:15], vcc, s[0:1]
	v_mov_b32_e32 v15, 0
	v_mov_b32_e32 v11, 0
	v_mov_b32_e32 v20, 0
	v_mov_b32_e32 v8, 0
	v_mov_b32_e32 v27, 0
	v_mov_b32_e32 v12, 0
	v_mov_b32_e32 v19, 0
	v_mov_b32_e32 v7, 0
	v_mov_b32_e32 v16, 0
	v_mov_b32_e32 v14, 0
	v_mov_b32_e32 v24, 0
	v_mov_b32_e32 v10, 0
	v_mov_b32_e32 v29, 0
	v_mov_b32_e32 v13, 0
	v_mov_b32_e32 v23, 0
	v_mov_b32_e32 v9, 0
                                        ; implicit-def: $vgpr17
                                        ; implicit-def: $vgpr18
                                        ; implicit-def: $vgpr33
                                        ; implicit-def: $vgpr22
                                        ; implicit-def: $vgpr36
                                        ; implicit-def: $vgpr28
                                        ; implicit-def: $vgpr32
                                        ; implicit-def: $vgpr21
                                        ; implicit-def: $vgpr38
                                        ; implicit-def: $vgpr31
                                        ; implicit-def: $vgpr35
                                        ; implicit-def: $vgpr25
                                        ; implicit-def: $vgpr37
                                        ; implicit-def: $vgpr30
                                        ; implicit-def: $vgpr34
                                        ; implicit-def: $vgpr26
	s_and_saveexec_b64 s[6:7], s[14:15]
	s_cbranch_execz .LBB0_11
; %bb.10:
	s_add_u32 s2, s16, s2
	s_addc_u32 s3, s17, s3
	s_load_dwordx2 s[2:3], s[2:3], 0x0
	v_mad_u64_u32 v[7:8], s[14:15], s22, v0, 0
	v_lshlrev_b64 v[5:6], 2, v[5:6]
	v_add_u32_e32 v34, 0x1c2, v0
	s_waitcnt lgkmcnt(0)
	v_mul_lo_u32 v13, s3, v3
	v_mul_lo_u32 v14, s2, v4
	v_mad_u64_u32 v[9:10], s[2:3], s2, v3, 0
	v_mad_u64_u32 v[11:12], s[2:3], s23, v0, v[8:9]
	v_add3_u32 v10, v10, v14, v13
	v_lshlrev_b64 v[9:10], 2, v[9:10]
	v_mov_b32_e32 v8, v11
	v_mov_b32_e32 v11, s9
	v_add_co_u32_e64 v12, s[2:3], s8, v9
	v_add_u32_e32 v13, 50, v0
	v_addc_co_u32_e64 v11, s[2:3], v11, v10, s[2:3]
	v_mad_u64_u32 v[9:10], s[2:3], s22, v13, 0
	v_add_co_u32_e64 v40, s[2:3], v12, v5
	v_addc_co_u32_e64 v41, s[2:3], v11, v6, s[2:3]
	v_lshlrev_b64 v[5:6], 2, v[7:8]
	v_mov_b32_e32 v7, v10
	v_mad_u64_u32 v[7:8], s[2:3], s23, v13, v[7:8]
	v_add_u32_e32 v13, 0x64, v0
	v_mad_u64_u32 v[11:12], s[2:3], s22, v13, 0
	v_mov_b32_e32 v10, v7
	v_add_co_u32_e64 v5, s[2:3], v40, v5
	v_lshlrev_b64 v[7:8], 2, v[9:10]
	v_mov_b32_e32 v9, v12
	v_addc_co_u32_e64 v6, s[2:3], v41, v6, s[2:3]
	v_mad_u64_u32 v[9:10], s[2:3], s23, v13, v[9:10]
	v_add_u32_e32 v10, 0x96, v0
	v_mad_u64_u32 v[13:14], s[2:3], s22, v10, 0
	v_add_co_u32_e64 v15, s[2:3], v40, v7
	v_mov_b32_e32 v12, v9
	v_mov_b32_e32 v9, v14
	v_addc_co_u32_e64 v16, s[2:3], v41, v8, s[2:3]
	v_lshlrev_b64 v[7:8], 2, v[11:12]
	v_mad_u64_u32 v[9:10], s[2:3], s23, v10, v[9:10]
	v_add_u32_e32 v12, 0xc8, v0
	v_mad_u64_u32 v[10:11], s[2:3], s22, v12, 0
	v_add_co_u32_e64 v17, s[2:3], v40, v7
	v_mov_b32_e32 v14, v9
	v_mov_b32_e32 v9, v11
	v_addc_co_u32_e64 v18, s[2:3], v41, v8, s[2:3]
	v_lshlrev_b64 v[7:8], 2, v[13:14]
	v_mad_u64_u32 v[11:12], s[2:3], s23, v12, v[9:10]
	v_add_u32_e32 v14, 0xfa, v0
	v_mad_u64_u32 v[12:13], s[2:3], s22, v14, 0
	v_add_co_u32_e64 v19, s[2:3], v40, v7
	v_mov_b32_e32 v9, v13
	v_addc_co_u32_e64 v20, s[2:3], v41, v8, s[2:3]
	v_lshlrev_b64 v[7:8], 2, v[10:11]
	v_mad_u64_u32 v[9:10], s[2:3], s23, v14, v[9:10]
	v_add_u32_e32 v14, 0x12c, v0
	v_mad_u64_u32 v[10:11], s[2:3], s22, v14, 0
	v_add_co_u32_e64 v21, s[2:3], v40, v7
	v_mov_b32_e32 v13, v9
	v_mov_b32_e32 v9, v11
	v_addc_co_u32_e64 v22, s[2:3], v41, v8, s[2:3]
	v_lshlrev_b64 v[7:8], 2, v[12:13]
	v_mad_u64_u32 v[11:12], s[2:3], s23, v14, v[9:10]
	v_add_u32_e32 v14, 0x15e, v0
	v_mad_u64_u32 v[12:13], s[2:3], s22, v14, 0
	v_add_co_u32_e64 v23, s[2:3], v40, v7
	v_mov_b32_e32 v9, v13
	v_addc_co_u32_e64 v24, s[2:3], v41, v8, s[2:3]
	v_lshlrev_b64 v[7:8], 2, v[10:11]
	v_mad_u64_u32 v[9:10], s[2:3], s23, v14, v[9:10]
	v_add_co_u32_e64 v25, s[2:3], v40, v7
	v_mov_b32_e32 v13, v9
	v_add_u32_e32 v9, 0x190, v0
	v_addc_co_u32_e64 v26, s[2:3], v41, v8, s[2:3]
	v_mad_u64_u32 v[27:28], s[2:3], s22, v9, 0
	v_lshlrev_b64 v[7:8], 2, v[12:13]
	v_add_co_u32_e64 v29, s[2:3], v40, v7
	v_mov_b32_e32 v7, v28
	v_addc_co_u32_e64 v30, s[2:3], v41, v8, s[2:3]
	v_mad_u64_u32 v[31:32], s[2:3], s23, v9, v[7:8]
	v_mad_u64_u32 v[32:33], s[2:3], s22, v34, 0
	global_load_dword v11, v[5:6], off
	global_load_dword v8, v[15:16], off
	;; [unrolled: 1-line block ×8, first 2 shown]
	v_add_u32_e32 v20, 0x1f4, v0
	v_mov_b32_e32 v15, v33
	v_mad_u64_u32 v[15:16], s[2:3], s23, v34, v[15:16]
	v_mad_u64_u32 v[16:17], s[2:3], s22, v20, 0
	v_mov_b32_e32 v28, v31
	v_lshlrev_b64 v[5:6], 2, v[27:28]
	v_mov_b32_e32 v33, v15
	v_add_co_u32_e64 v5, s[2:3], v40, v5
	v_mov_b32_e32 v15, v17
	v_addc_co_u32_e64 v6, s[2:3], v41, v6, s[2:3]
	v_mad_u64_u32 v[20:21], s[2:3], s23, v20, v[15:16]
	v_add_u32_e32 v25, 0x226, v0
	v_mad_u64_u32 v[21:22], s[2:3], s22, v25, 0
	v_lshlrev_b64 v[18:19], 2, v[32:33]
	v_mov_b32_e32 v17, v20
	v_add_co_u32_e64 v23, s[2:3], v40, v18
	v_lshlrev_b64 v[15:16], 2, v[16:17]
	v_mov_b32_e32 v17, v22
	v_addc_co_u32_e64 v24, s[2:3], v41, v19, s[2:3]
	v_mad_u64_u32 v[17:18], s[2:3], s23, v25, v[17:18]
	v_add_u32_e32 v25, 0x258, v0
	v_mad_u64_u32 v[18:19], s[2:3], s22, v25, 0
	v_add_co_u32_e64 v15, s[2:3], v40, v15
	v_mov_b32_e32 v22, v17
	v_mov_b32_e32 v17, v19
	v_addc_co_u32_e64 v16, s[2:3], v41, v16, s[2:3]
	v_lshlrev_b64 v[20:21], 2, v[21:22]
	v_mad_u64_u32 v[25:26], s[2:3], s23, v25, v[17:18]
	v_add_u32_e32 v22, 0x28a, v0
	v_mad_u64_u32 v[26:27], s[2:3], s22, v22, 0
	v_mov_b32_e32 v19, v25
	v_add_co_u32_e64 v32, s[2:3], v40, v20
	v_lshlrev_b64 v[17:18], 2, v[18:19]
	v_mov_b32_e32 v19, v27
	v_addc_co_u32_e64 v33, s[2:3], v41, v21, s[2:3]
	v_mad_u64_u32 v[19:20], s[2:3], s23, v22, v[19:20]
	v_add_u32_e32 v22, 0x2bc, v0
	v_mad_u64_u32 v[20:21], s[2:3], s22, v22, 0
	v_add_co_u32_e64 v34, s[2:3], v40, v17
	v_mov_b32_e32 v27, v19
	v_mov_b32_e32 v19, v21
	v_addc_co_u32_e64 v35, s[2:3], v41, v18, s[2:3]
	v_mad_u64_u32 v[21:22], s[2:3], s23, v22, v[19:20]
	v_add_u32_e32 v22, 0x2ee, v0
	v_lshlrev_b64 v[17:18], 2, v[26:27]
	v_mad_u64_u32 v[25:26], s[2:3], s22, v22, 0
	v_add_co_u32_e64 v36, s[2:3], v40, v17
	v_mov_b32_e32 v19, v26
	v_addc_co_u32_e64 v37, s[2:3], v41, v18, s[2:3]
	v_lshlrev_b64 v[17:18], 2, v[20:21]
	v_mad_u64_u32 v[19:20], s[2:3], s23, v22, v[19:20]
	v_add_co_u32_e64 v38, s[2:3], v40, v17
	v_mov_b32_e32 v26, v19
	v_addc_co_u32_e64 v39, s[2:3], v41, v18, s[2:3]
	v_lshlrev_b64 v[17:18], 2, v[25:26]
	s_waitcnt vmcnt(5)
	v_lshrrev_b32_e32 v27, 16, v12
	v_add_co_u32_e64 v19, s[2:3], v40, v17
	v_addc_co_u32_e64 v20, s[2:3], v41, v18, s[2:3]
	global_load_dword v18, v[5:6], off
	global_load_dword v22, v[23:24], off
	;; [unrolled: 1-line block ×8, first 2 shown]
	v_lshrrev_b32_e32 v15, 16, v11
	v_lshrrev_b32_e32 v20, 16, v8
	s_waitcnt vmcnt(12)
	v_lshrrev_b32_e32 v19, 16, v7
	s_waitcnt vmcnt(11)
	;; [unrolled: 2-line block ×13, first 2 shown]
	v_lshrrev_b32_e32 v34, 16, v26
.LBB0_11:
	s_or_b64 exec, exec, s[6:7]
	v_sub_f16_e32 v5, v11, v18
	v_fma_f16 v6, v11, 2.0, -v5
	v_sub_f16_e32 v11, v14, v31
	v_sub_f16_e32 v28, v12, v28
	;; [unrolled: 1-line block ×4, first 2 shown]
	v_fma_f16 v38, v12, 2.0, -v28
	v_fma_f16 v12, v27, 2.0, -v31
	v_sub_f16_e32 v27, v13, v30
	v_fma_f16 v14, v14, 2.0, -v11
	v_sub_f16_e32 v37, v29, v37
	;; [unrolled: 2-line block ×5, first 2 shown]
	v_sub_f16_e32 v10, v38, v13
	v_fma_f16 v8, v8, 2.0, -v22
	v_sub_f16_e32 v35, v24, v35
	v_sub_f16_e32 v21, v7, v21
	;; [unrolled: 1-line block ×3, first 2 shown]
	v_fma_f16 v6, v6, 2.0, -v30
	v_sub_f16_e32 v36, v5, v18
	v_sub_f16_e32 v13, v12, v29
	v_fma_f16 v29, v38, 2.0, -v10
	v_sub_f16_e32 v38, v28, v37
	v_fma_f16 v24, v24, 2.0, -v35
	v_sub_f16_e32 v32, v19, v32
	v_sub_f16_e32 v26, v9, v26
	v_fma_f16 v5, v5, 2.0, -v36
	v_add_f16_e32 v40, v31, v27
	v_fma_f16 v27, v28, 2.0, -v38
	v_sub_f16_e32 v44, v8, v39
	v_sub_f16_e32 v45, v22, v35
	;; [unrolled: 1-line block ×4, first 2 shown]
	s_mov_b32 s3, 0xb9a8
	v_sub_f16_e32 v33, v20, v33
	v_fma_f16 v7, v7, 2.0, -v21
	v_fma_f16 v9, v9, 2.0, -v26
	v_fma_f16 v23, v23, 2.0, -v34
	v_fma_f16 v28, v31, 2.0, -v40
	v_fma_f16 v22, v22, 2.0, -v45
	v_add_f16_e32 v46, v32, v26
	v_fma_f16 v34, v21, 2.0, -v35
	v_fma_f16 v37, v6, 2.0, -v39
	v_fma_f16 v6, v27, s3, v5
	v_fma_f16 v20, v20, 2.0, -v33
	v_fma_f16 v19, v19, 2.0, -v32
	v_add_f16_e32 v25, v33, v25
	v_sub_f16_e32 v9, v7, v9
	v_fma_f16 v32, v32, 2.0, -v46
	v_fma_f16 v47, v28, s3, v6
	v_fma_f16 v6, v34, s3, v22
	v_sub_f16_e32 v24, v20, v24
	v_fma_f16 v8, v8, 2.0, -v44
	v_fma_f16 v33, v33, 2.0, -v25
	v_sub_f16_e32 v23, v19, v23
	v_fma_f16 v7, v7, 2.0, -v9
	s_movk_i32 s2, 0x39a8
	v_mul_f16_e32 v21, 0x39a8, v28
	v_fma_f16 v28, v32, s3, v6
	v_fma_f16 v14, v20, 2.0, -v24
	v_fma_f16 v31, v19, 2.0, -v23
	v_sub_f16_e32 v19, v8, v7
	v_fma_f16 v7, v32, s3, v33
	v_fma_f16 v32, v22, 2.0, -v28
	v_add_f16_e32 v9, v24, v9
	v_fma_f16 v22, v46, s2, v25
	v_fma_f16 v41, v5, 2.0, -v47
	v_sub_f16_e32 v42, v30, v13
	v_mul_f16_e32 v26, 0x39a8, v38
	v_fma_f16 v5, v38, s2, v36
	v_sub_f16_e32 v29, v14, v31
	v_fma_f16 v31, v34, s2, v7
	v_sub_f16_e32 v7, v44, v23
	v_fma_f16 v38, v24, 2.0, -v9
	v_fma_f16 v6, v35, s2, v45
	v_fma_f16 v35, v35, s2, v22
	;; [unrolled: 1-line block ×3, first 2 shown]
	v_fma_f16 v5, v8, 2.0, -v19
	v_fma_f16 v34, v33, 2.0, -v31
	;; [unrolled: 1-line block ×3, first 2 shown]
	v_fma_f16 v33, v46, s3, v6
	v_fma_f16 v23, v25, 2.0, -v35
	v_mul_f16_e32 v25, 0x39a8, v38
	s_movk_i32 s6, 0x361f
	v_mul_f16_e32 v38, 0x39a8, v7
	v_fma_f16 v7, v7, s2, v42
	s_movk_i32 s8, 0x3b64
	v_fma_f16 v22, v45, 2.0, -v33
	s_mov_b32 s7, 0xbb64
	s_mov_b32 s9, 0xb61f
	v_mul_f16_e32 v24, 0x39a8, v8
	v_fma_f16 v8, v28, s6, v47
	v_fma_f16 v45, v9, s3, v7
	;; [unrolled: 1-line block ×6, first 2 shown]
	v_mul_f16_e32 v20, 0x39a8, v27
	v_mul_f16_e32 v27, 0x39a8, v40
	v_sub_f16_e32 v5, v37, v5
	v_fma_f16 v6, v34, s9, v6
	v_fma_f16 v8, v47, 2.0, -v44
	v_mul_f16_e32 v40, 0x39a8, v9
	v_fma_f16 v7, v42, 2.0, -v45
	v_fma_f16 v9, v43, 2.0, -v46
	s_and_saveexec_b64 s[2:3], s[0:1]
	s_cbranch_execz .LBB0_13
; %bb.12:
	v_fma_f16 v36, v36, 2.0, -v43
	v_fma_f16 v30, v30, 2.0, -v42
	v_fma_f16 v43, v22, s9, v36
	v_sub_f16_e32 v42, v30, v24
	v_fma_f16 v43, v23, s7, v43
	v_sub_f16_e32 v42, v42, v25
	v_fma_f16 v36, v36, 2.0, -v43
	v_sub_f16_e32 v47, v39, v29
	v_fma_f16 v30, v30, 2.0, -v42
	v_fma_f16 v41, v41, 2.0, -v6
	;; [unrolled: 1-line block ×4, first 2 shown]
	v_lshl_add_u32 v48, v0, 5, 0
	v_pack_b32_f16 v30, v30, v36
	v_pack_b32_f16 v36, v37, v41
	s_mov_b32 s9, 0x5040100
	ds_write2_b32 v48, v36, v30 offset1:1
	v_perm_b32 v30, v9, v7, s9
	v_perm_b32 v36, v8, v39, s9
	ds_write2_b32 v48, v36, v30 offset0:2 offset1:3
	v_pack_b32_f16 v30, v42, v43
	v_perm_b32 v36, v6, v5, s9
	ds_write2_b32 v48, v36, v30 offset0:4 offset1:5
	v_perm_b32 v30, v46, v45, s9
	v_perm_b32 v36, v44, v47, s9
	ds_write2_b32 v48, v36, v30 offset0:6 offset1:7
.LBB0_13:
	s_or_b64 exec, exec, s[2:3]
	v_sub_f16_e32 v17, v15, v17
	v_fma_f16 v15, v15, 2.0, -v17
	v_fma_f16 v16, v16, 2.0, -v18
	v_sub_f16_e32 v36, v15, v16
	v_add_f16_e32 v37, v17, v11
	v_fma_f16 v15, v15, 2.0, -v36
	v_fma_f16 v11, v17, 2.0, -v37
	;; [unrolled: 1-line block ×3, first 2 shown]
	v_sub_f16_e32 v30, v15, v12
	v_sub_f16_e32 v12, v11, v21
	v_lshl_add_u32 v17, v0, 1, 0
	v_fma_f16 v39, v15, 2.0, -v30
	v_add_f16_e32 v13, v20, v12
	v_add_f16_e32 v42, v36, v10
	;; [unrolled: 1-line block ×3, first 2 shown]
	s_waitcnt lgkmcnt(0)
	s_barrier
	ds_read_u16 v15, v17
	ds_read_u16 v21, v17 offset:320
	ds_read_u16 v20, v17 offset:640
	;; [unrolled: 1-line block ×4, first 2 shown]
	v_fma_f16 v41, v11, 2.0, -v13
	v_add_f16_e32 v43, v26, v10
	v_fma_f16 v10, v14, 2.0, -v29
	v_sub_f16_e32 v12, v39, v10
	v_fma_f16 v10, v34, s7, v41
	v_fma_f16 v11, v32, s6, v10
	;; [unrolled: 1-line block ×4, first 2 shown]
	v_fma_f16 v10, v13, 2.0, -v26
	v_add_f16_e32 v13, v42, v40
	v_fma_f16 v14, v35, s8, v43
	v_add_f16_e32 v27, v38, v13
	v_fma_f16 v28, v33, s6, v14
	v_fma_f16 v13, v42, 2.0, -v27
	v_fma_f16 v14, v43, 2.0, -v28
	s_waitcnt lgkmcnt(0)
	s_barrier
	s_and_saveexec_b64 s[2:3], s[0:1]
	s_cbranch_execz .LBB0_15
; %bb.14:
	v_fma_f16 v29, v36, 2.0, -v42
	v_fma_f16 v31, v37, 2.0, -v43
	s_mov_b32 s0, 0xb61f
	v_sub_f16_e32 v25, v29, v25
	v_fma_f16 v23, v23, s0, v31
	s_movk_i32 s0, 0x3b64
	v_add_f16_e32 v24, v24, v25
	v_fma_f16 v22, v22, s0, v23
	v_fma_f16 v32, v39, 2.0, -v12
	v_fma_f16 v33, v41, 2.0, -v11
	;; [unrolled: 1-line block ×4, first 2 shown]
	v_add_f16_e32 v19, v30, v19
	v_fma_f16 v29, v30, 2.0, -v19
	v_mad_u32_u24 v30, v0, 30, v17
	v_pack_b32_f16 v23, v25, v23
	v_pack_b32_f16 v25, v32, v33
	s_mov_b32 s0, 0x5040100
	ds_write2_b32 v30, v25, v23 offset1:1
	v_perm_b32 v23, v14, v13, s0
	v_perm_b32 v25, v10, v29, s0
	ds_write2_b32 v30, v25, v23 offset0:2 offset1:3
	v_pack_b32_f16 v22, v24, v22
	v_perm_b32 v23, v11, v12, s0
	ds_write2_b32 v30, v23, v22 offset0:4 offset1:5
	v_perm_b32 v22, v28, v27, s0
	v_perm_b32 v19, v26, v19, s0
	ds_write2_b32 v30, v19, v22 offset0:6 offset1:7
.LBB0_15:
	s_or_b64 exec, exec, s[2:3]
	v_and_b32_e32 v19, 15, v0
	v_lshlrev_b32_e32 v22, 4, v19
	s_load_dwordx2 s[2:3], s[4:5], 0x0
	s_waitcnt lgkmcnt(0)
	s_barrier
	global_load_dwordx4 v[29:32], v22, s[12:13]
	ds_read_u16 v24, v17
	ds_read_u16 v23, v17 offset:320
	ds_read_u16 v27, v17 offset:640
	;; [unrolled: 1-line block ×4, first 2 shown]
	v_lshrrev_b32_e32 v22, 4, v0
	v_mul_u32_u24_e32 v22, 0x50, v22
	v_or_b32_e32 v19, v22, v19
	v_lshl_add_u32 v26, v19, 1, 0
	s_movk_i32 s7, 0x3b9c
	s_mov_b32 s9, 0xbb9c
	s_movk_i32 s6, 0x38b4
	s_mov_b32 s14, 0xb8b4
	s_movk_i32 s8, 0x34f2
	s_movk_i32 s0, 0x50
	v_cmp_gt_u32_e64 s[0:1], s0, v0
	s_waitcnt vmcnt(0) lgkmcnt(0)
	s_barrier
	v_mul_f16_sdwa v19, v23, v29 dst_sel:DWORD dst_unused:UNUSED_PAD src0_sel:DWORD src1_sel:WORD_1
	v_mul_f16_sdwa v25, v21, v29 dst_sel:DWORD dst_unused:UNUSED_PAD src0_sel:DWORD src1_sel:WORD_1
	;; [unrolled: 1-line block ×8, first 2 shown]
	v_fma_f16 v22, v21, v29, -v19
	v_fma_f16 v25, v23, v29, v25
	v_fma_f16 v23, v20, v30, -v34
	v_fma_f16 v27, v27, v30, v35
	;; [unrolled: 2-line block ×4, first 2 shown]
	v_add_f16_e32 v16, v15, v22
	v_add_f16_e32 v18, v23, v30
	;; [unrolled: 1-line block ×3, first 2 shown]
	v_sub_f16_e32 v19, v25, v29
	v_sub_f16_e32 v20, v27, v28
	;; [unrolled: 1-line block ×6, first 2 shown]
	v_add_f16_e32 v16, v16, v23
	v_fma_f16 v18, v18, -0.5, v15
	v_fma_f16 v15, v33, -0.5, v15
	v_add_f16_e32 v21, v21, v32
	v_add_f16_e32 v32, v34, v35
	v_add_f16_e32 v16, v16, v30
	v_fma_f16 v33, v19, s7, v18
	v_fma_f16 v18, v19, s9, v18
	;; [unrolled: 1-line block ×4, first 2 shown]
	v_add_f16_e32 v15, v16, v31
	v_fma_f16 v16, v20, s6, v33
	v_fma_f16 v18, v20, s14, v18
	;; [unrolled: 1-line block ×8, first 2 shown]
	ds_write_b16 v26, v15
	ds_write_b16 v26, v20 offset:32
	ds_write_b16 v26, v18 offset:64
	;; [unrolled: 1-line block ×4, first 2 shown]
	s_waitcnt lgkmcnt(0)
	s_barrier
	s_and_saveexec_b64 s[4:5], s[0:1]
	s_cbranch_execz .LBB0_17
; %bb.16:
	ds_read_u16 v15, v17
	ds_read_u16 v20, v17 offset:160
	ds_read_u16 v18, v17 offset:320
	;; [unrolled: 1-line block ×9, first 2 shown]
.LBB0_17:
	s_or_b64 exec, exec, s[4:5]
	v_add_f16_e32 v32, v27, v28
	v_fma_f16 v32, v32, -0.5, v24
	v_sub_f16_e32 v31, v22, v31
	v_fma_f16 v22, v31, s9, v32
	v_sub_f16_e32 v30, v23, v30
	v_sub_f16_e32 v23, v25, v27
	;; [unrolled: 1-line block ×3, first 2 shown]
	v_fma_f16 v32, v31, s7, v32
	v_fma_f16 v22, v30, s14, v22
	v_add_f16_e32 v23, v23, v33
	v_fma_f16 v32, v30, s6, v32
	v_fma_f16 v22, v23, s8, v22
	v_fma_f16 v23, v23, s8, v32
	v_add_f16_e32 v32, v25, v29
	v_add_f16_e32 v16, v24, v25
	v_fma_f16 v24, v32, -0.5, v24
	v_add_f16_e32 v16, v16, v27
	v_fma_f16 v32, v30, s7, v24
	v_sub_f16_e32 v25, v27, v25
	v_sub_f16_e32 v27, v28, v29
	v_fma_f16 v24, v30, s9, v24
	v_add_f16_e32 v16, v16, v28
	v_fma_f16 v32, v31, s14, v32
	v_add_f16_e32 v27, v25, v27
	;; [unrolled: 2-line block ×3, first 2 shown]
	v_fma_f16 v25, v27, s8, v32
	v_fma_f16 v24, v27, s8, v24
	s_waitcnt lgkmcnt(0)
	s_barrier
	ds_write_b16 v26, v16
	ds_write_b16 v26, v22 offset:32
	ds_write_b16 v26, v25 offset:64
	;; [unrolled: 1-line block ×4, first 2 shown]
	s_waitcnt lgkmcnt(0)
	s_barrier
	s_and_saveexec_b64 s[4:5], s[0:1]
	s_cbranch_execnz .LBB0_20
; %bb.18:
	s_or_b64 exec, exec, s[4:5]
	s_and_b64 s[0:1], vcc, s[0:1]
	s_and_saveexec_b64 s[4:5], s[0:1]
	s_cbranch_execnz .LBB0_21
.LBB0_19:
	s_endpgm
.LBB0_20:
	ds_read_u16 v16, v17
	ds_read_u16 v22, v17 offset:160
	ds_read_u16 v25, v17 offset:320
	;; [unrolled: 1-line block ×9, first 2 shown]
	s_or_b64 exec, exec, s[4:5]
	s_and_b64 s[0:1], vcc, s[0:1]
	s_and_saveexec_b64 s[4:5], s[0:1]
	s_cbranch_execz .LBB0_19
.LBB0_21:
	v_mul_u32_u24_e32 v17, 9, v0
	v_lshlrev_b32_e32 v17, 2, v17
	global_load_dwordx4 v[26:29], v17, s[12:13] offset:256
	global_load_dwordx4 v[30:33], v17, s[12:13] offset:272
	global_load_dword v34, v17, s[12:13] offset:288
	v_mul_lo_u32 v17, s3, v3
	v_mul_lo_u32 v35, s2, v4
	v_mad_u64_u32 v[3:4], s[0:1], s2, v3, 0
	s_movk_i32 s0, 0x3b9c
	s_mov_b32 s3, 0xbb9c
	v_add3_u32 v4, v4, v35, v17
	s_movk_i32 s1, 0x38b4
	s_mov_b32 s4, 0xb8b4
	s_movk_i32 s2, 0x34f2
	s_movk_i32 s5, 0x3a79
	v_lshlrev_b64 v[3:4], 2, v[3:4]
	v_lshlrev_b64 v[1:2], 2, v[1:2]
	s_waitcnt vmcnt(2)
	v_lshrrev_b32_e32 v17, 16, v27
	v_lshrrev_b32_e32 v35, 16, v29
	s_waitcnt lgkmcnt(7)
	v_mul_f16_e32 v36, v25, v27
	s_waitcnt lgkmcnt(5)
	v_mul_f16_e32 v37, v23, v29
	s_waitcnt vmcnt(1)
	v_lshrrev_b32_e32 v38, 16, v31
	v_lshrrev_b32_e32 v39, 16, v33
	s_waitcnt lgkmcnt(1)
	v_mul_f16_e32 v40, v12, v33
	v_mul_f16_e32 v41, v13, v31
	v_mul_f16_sdwa v42, v24, v28 dst_sel:DWORD dst_unused:UNUSED_PAD src0_sel:DWORD src1_sel:WORD_1
	v_mul_f16_sdwa v43, v10, v30 dst_sel:DWORD dst_unused:UNUSED_PAD src0_sel:DWORD src1_sel:WORD_1
	s_waitcnt vmcnt(0) lgkmcnt(0)
	v_mul_f16_sdwa v44, v11, v34 dst_sel:DWORD dst_unused:UNUSED_PAD src0_sel:DWORD src1_sel:WORD_1
	v_mul_f16_sdwa v45, v14, v32 dst_sel:DWORD dst_unused:UNUSED_PAD src0_sel:DWORD src1_sel:WORD_1
	;; [unrolled: 1-line block ×8, first 2 shown]
	v_fma_f16 v36, v18, v17, v36
	v_fma_f16 v37, v19, v35, v37
	;; [unrolled: 1-line block ×4, first 2 shown]
	v_mul_f16_e32 v23, v23, v35
	v_mul_f16_e32 v13, v13, v38
	;; [unrolled: 1-line block ×4, first 2 shown]
	v_fma_f16 v21, v21, v28, -v42
	v_fma_f16 v8, v8, v30, -v43
	;; [unrolled: 1-line block ×5, first 2 shown]
	v_fma_f16 v24, v24, v28, v47
	v_fma_f16 v11, v11, v34, v48
	;; [unrolled: 1-line block ×5, first 2 shown]
	v_sub_f16_e32 v25, v36, v37
	v_sub_f16_e32 v26, v40, v41
	v_fma_f16 v19, v19, v29, -v23
	v_fma_f16 v7, v7, v31, -v13
	;; [unrolled: 1-line block ×4, first 2 shown]
	v_add_f16_e32 v12, v37, v41
	v_add_f16_e32 v43, v36, v40
	v_sub_f16_e32 v17, v21, v8
	v_sub_f16_e32 v18, v6, v9
	v_add_f16_e32 v23, v8, v9
	v_sub_f16_e32 v29, v24, v10
	v_sub_f16_e32 v30, v11, v14
	v_add_f16_e32 v33, v10, v14
	v_add_f16_e32 v25, v25, v26
	v_sub_f16_e32 v26, v19, v7
	v_sub_f16_e32 v38, v13, v5
	v_fma_f16 v12, v12, -0.5, v16
	v_fma_f16 v43, v43, -0.5, v16
	v_sub_f16_e32 v48, v10, v24
	v_sub_f16_e32 v49, v14, v11
	;; [unrolled: 1-line block ×4, first 2 shown]
	v_add_f16_e32 v17, v17, v18
	v_fma_f16 v18, v23, -0.5, v20
	v_add_f16_e32 v23, v29, v30
	v_fma_f16 v29, v33, -0.5, v22
	v_fma_f16 v33, v38, s0, v12
	v_fma_f16 v44, v26, s3, v43
	v_add_f16_e32 v48, v48, v49
	v_add_f16_e32 v49, v24, v11
	v_fma_f16 v43, v26, s0, v43
	v_fma_f16 v12, v38, s3, v12
	v_sub_f16_e32 v31, v8, v9
	v_sub_f16_e32 v32, v21, v6
	v_add_f16_e32 v30, v34, v35
	v_fma_f16 v33, v26, s1, v33
	v_fma_f16 v44, v38, s1, v44
	v_fma_f16 v49, v49, -0.5, v22
	v_fma_f16 v43, v38, s4, v43
	v_fma_f16 v12, v26, s4, v12
	;; [unrolled: 1-line block ×10, first 2 shown]
	v_add_f16_e32 v22, v24, v22
	v_sub_f16_e32 v28, v10, v14
	v_fma_f16 v35, v31, s1, v35
	v_sub_f16_e32 v45, v8, v21
	v_sub_f16_e32 v46, v9, v6
	v_fma_f16 v50, v32, s1, v50
	v_fma_f16 v43, v32, s4, v43
	;; [unrolled: 1-line block ×3, first 2 shown]
	v_add_f16_e32 v10, v10, v22
	v_sub_f16_e32 v31, v19, v13
	v_sub_f16_e32 v32, v7, v5
	;; [unrolled: 1-line block ×3, first 2 shown]
	v_add_f16_e32 v45, v45, v46
	v_add_f16_e32 v46, v21, v6
	;; [unrolled: 1-line block ×3, first 2 shown]
	v_sub_f16_e32 v14, v13, v19
	v_add_f16_e32 v31, v31, v32
	v_add_f16_e32 v32, v13, v5
	;; [unrolled: 1-line block ×3, first 2 shown]
	v_fma_f16 v34, v27, s3, v18
	v_fma_f16 v46, v46, -0.5, v20
	v_sub_f16_e32 v22, v5, v7
	v_add_f16_e32 v13, v13, v19
	v_fma_f16 v34, v28, s4, v34
	v_fma_f16 v47, v28, s0, v46
	v_add_f16_e32 v14, v14, v22
	v_add_f16_e32 v22, v19, v7
	;; [unrolled: 1-line block ×3, first 2 shown]
	v_fma_f16 v34, v17, s2, v34
	v_fma_f16 v35, v23, s2, v35
	;; [unrolled: 1-line block ×5, first 2 shown]
	v_add_f16_e32 v13, v5, v7
	v_add_f16_e32 v5, v21, v20
	v_mul_f16_e32 v39, 0x3a79, v35
	v_fma_f16 v47, v45, s2, v47
	v_fma_f16 v46, v27, s1, v46
	;; [unrolled: 1-line block ×3, first 2 shown]
	v_fma_f16 v22, v22, -0.5, v15
	v_sub_f16_e32 v24, v36, v40
	v_sub_f16_e32 v27, v37, v41
	v_mul_f16_e32 v28, 0x3a79, v34
	v_fma_f16 v32, v32, -0.5, v15
	v_add_f16_e32 v5, v8, v5
	v_fma_f16 v39, v34, s4, -v39
	v_fma_f16 v50, v48, s2, v50
	v_fma_f16 v26, v24, s3, v22
	v_fma_f16 v28, v35, s1, -v28
	v_fma_f16 v34, v27, s0, v32
	v_mul_f16_e32 v35, 0x34f2, v47
	v_fma_f16 v32, v27, s3, v32
	v_fma_f16 v22, v24, s0, v22
	v_add_f16_e32 v5, v9, v5
	v_fma_f16 v35, v50, s0, -v35
	v_fma_f16 v32, v24, s1, v32
	v_fma_f16 v22, v27, s1, v22
	v_add_f16_e32 v8, v6, v5
	v_mad_u64_u32 v[5:6], s[0:1], s20, v0, 0
	v_fma_f16 v23, v23, s2, v25
	v_fma_f16 v26, v27, s4, v26
	;; [unrolled: 1-line block ×5, first 2 shown]
	v_mul_f16_e32 v22, 0x38b4, v23
	v_mul_f16_e32 v18, 0xb8b4, v17
	v_fma_f16 v17, v17, s5, v22
	v_sub_f16_e32 v22, v14, v17
	v_sub_f16_e32 v9, v13, v8
	v_mad_u64_u32 v[6:7], s[0:1], s21, v0, v[6:7]
	v_add_f16_e32 v14, v14, v17
	v_add_f16_e32 v8, v13, v8
	v_mov_b32_e32 v13, s11
	v_add_co_u32_e32 v17, vcc, s10, v3
	v_add_u32_e32 v21, 0x50, v0
	v_addc_co_u32_e32 v13, vcc, v13, v4, vcc
	v_mad_u64_u32 v[3:4], s[0:1], s20, v21, 0
	v_add_f16_e32 v16, v16, v36
	v_add_f16_e32 v16, v16, v37
	v_add_co_u32_e32 v17, vcc, v17, v1
	v_add_f16_e32 v16, v16, v41
	v_addc_co_u32_e32 v13, vcc, v13, v2, vcc
	v_lshlrev_b64 v[1:2], 2, v[5:6]
	v_add_f16_e32 v16, v40, v16
	v_add_f16_e32 v10, v11, v10
	v_mad_u64_u32 v[4:5], s[0:1], s21, v21, v[4:5]
	v_sub_f16_e32 v11, v16, v10
	v_add_f16_e32 v10, v16, v10
	v_add_co_u32_e32 v1, vcc, v17, v1
	v_addc_co_u32_e32 v2, vcc, v13, v2, vcc
	v_pack_b32_f16 v5, v8, v10
	global_store_dword v[1:2], v5, off
	v_add_u32_e32 v5, 0xa0, v0
	v_lshlrev_b64 v[1:2], 2, v[3:4]
	v_mad_u64_u32 v[3:4], s[0:1], s20, v5, 0
	v_add_u32_e32 v10, 0xf0, v0
	v_fma_f16 v18, v23, s5, v18
	v_mad_u64_u32 v[4:5], s[0:1], s21, v5, v[4:5]
	v_mad_u64_u32 v[5:6], s[0:1], s20, v10, 0
	v_sub_f16_e32 v25, v12, v18
	v_add_f16_e32 v12, v12, v18
	v_add_co_u32_e32 v1, vcc, v17, v1
	v_addc_co_u32_e32 v2, vcc, v13, v2, vcc
	v_pack_b32_f16 v8, v14, v12
	global_store_dword v[1:2], v8, off
	v_lshlrev_b64 v[1:2], 2, v[3:4]
	v_mov_b32_e32 v3, v6
	v_fma_f16 v43, v48, s2, v43
	v_fma_f16 v45, v45, s2, v46
	;; [unrolled: 1-line block ×3, first 2 shown]
	v_mad_u64_u32 v[3:4], s[0:1], s21, v10, v[3:4]
	v_mul_f16_e32 v46, 0xbb9c, v45
	v_fma_f16 v34, v31, s2, v34
	v_fma_f16 v31, v31, s2, v32
	v_mul_f16_e32 v32, 0x3b9c, v43
	v_fma_f16 v46, v43, s2, v46
	v_fma_f16 v32, v45, s2, v32
	v_add_f16_e32 v20, v30, v46
	v_add_f16_e32 v7, v31, v32
	v_add_co_u32_e32 v1, vcc, v17, v1
	v_addc_co_u32_e32 v2, vcc, v13, v2, vcc
	v_pack_b32_f16 v4, v7, v20
	v_mov_b32_e32 v6, v3
	global_store_dword v[1:2], v4, off
	v_lshlrev_b64 v[1:2], 2, v[5:6]
	v_add_u32_e32 v5, 0x140, v0
	v_mad_u64_u32 v[3:4], s[0:1], s20, v5, 0
	v_add_u32_e32 v8, 0x190, v0
	v_mul_f16_e32 v51, 0x34f2, v50
	v_mad_u64_u32 v[4:5], s[0:1], s21, v5, v[4:5]
	v_mad_u64_u32 v[5:6], s[0:1], s20, v8, 0
	v_fma_f16 v51, v47, s3, -v51
	v_add_f16_e32 v19, v44, v51
	v_add_f16_e32 v18, v34, v35
	v_add_co_u32_e32 v1, vcc, v17, v1
	v_addc_co_u32_e32 v2, vcc, v13, v2, vcc
	v_pack_b32_f16 v7, v18, v19
	global_store_dword v[1:2], v7, off
	v_lshlrev_b64 v[1:2], 2, v[3:4]
	v_mov_b32_e32 v3, v6
	v_mad_u64_u32 v[3:4], s[0:1], s21, v8, v[3:4]
	v_add_f16_e32 v15, v33, v39
	v_add_f16_e32 v16, v26, v28
	v_add_co_u32_e32 v1, vcc, v17, v1
	v_addc_co_u32_e32 v2, vcc, v13, v2, vcc
	v_pack_b32_f16 v4, v16, v15
	v_mov_b32_e32 v6, v3
	global_store_dword v[1:2], v4, off
	v_lshlrev_b64 v[1:2], 2, v[5:6]
	v_add_u32_e32 v5, 0x1e0, v0
	v_mad_u64_u32 v[3:4], s[0:1], s20, v5, 0
	v_add_u32_e32 v8, 0x230, v0
	v_add_co_u32_e32 v1, vcc, v17, v1
	v_mad_u64_u32 v[4:5], s[0:1], s21, v5, v[4:5]
	v_mad_u64_u32 v[5:6], s[0:1], s20, v8, 0
	v_addc_co_u32_e32 v2, vcc, v13, v2, vcc
	v_pack_b32_f16 v7, v9, v11
	global_store_dword v[1:2], v7, off
	v_lshlrev_b64 v[1:2], 2, v[3:4]
	v_mov_b32_e32 v3, v6
	v_mad_u64_u32 v[3:4], s[0:1], s21, v8, v[3:4]
	v_add_co_u32_e32 v1, vcc, v17, v1
	v_addc_co_u32_e32 v2, vcc, v13, v2, vcc
	v_pack_b32_f16 v4, v22, v25
	v_mov_b32_e32 v6, v3
	global_store_dword v[1:2], v4, off
	v_lshlrev_b64 v[1:2], 2, v[5:6]
	v_or_b32_e32 v5, 0x280, v0
	v_mad_u64_u32 v[3:4], s[0:1], s20, v5, 0
	v_add_u32_e32 v8, 0x2d0, v0
	v_sub_f16_e32 v48, v30, v46
	v_mad_u64_u32 v[4:5], s[0:1], s21, v5, v[4:5]
	v_mad_u64_u32 v[5:6], s[0:1], s20, v8, 0
	v_sub_f16_e32 v37, v31, v32
	v_add_co_u32_e32 v1, vcc, v17, v1
	v_addc_co_u32_e32 v2, vcc, v13, v2, vcc
	v_pack_b32_f16 v7, v37, v48
	global_store_dword v[1:2], v7, off
	v_mov_b32_e32 v2, v6
	v_lshlrev_b64 v[0:1], 2, v[3:4]
	v_mad_u64_u32 v[2:3], s[0:1], s21, v8, v[2:3]
	v_sub_f16_e32 v52, v44, v51
	v_sub_f16_e32 v36, v34, v35
	v_add_co_u32_e32 v0, vcc, v17, v0
	v_addc_co_u32_e32 v1, vcc, v13, v1, vcc
	v_pack_b32_f16 v3, v36, v52
	v_mov_b32_e32 v6, v2
	global_store_dword v[0:1], v3, off
	v_lshlrev_b64 v[0:1], 2, v[5:6]
	v_sub_f16_e32 v42, v33, v39
	v_sub_f16_e32 v29, v26, v28
	v_add_co_u32_e32 v0, vcc, v17, v0
	v_addc_co_u32_e32 v1, vcc, v13, v1, vcc
	v_pack_b32_f16 v2, v29, v42
	global_store_dword v[0:1], v2, off
	s_endpgm
	.section	.rodata,"a",@progbits
	.p2align	6, 0x0
	.amdhsa_kernel fft_rtc_fwd_len800_factors_16_5_10_wgs_160_tpt_160_halfLds_half_op_CI_CI_sbrr_dirReg
		.amdhsa_group_segment_fixed_size 0
		.amdhsa_private_segment_fixed_size 0
		.amdhsa_kernarg_size 104
		.amdhsa_user_sgpr_count 6
		.amdhsa_user_sgpr_private_segment_buffer 1
		.amdhsa_user_sgpr_dispatch_ptr 0
		.amdhsa_user_sgpr_queue_ptr 0
		.amdhsa_user_sgpr_kernarg_segment_ptr 1
		.amdhsa_user_sgpr_dispatch_id 0
		.amdhsa_user_sgpr_flat_scratch_init 0
		.amdhsa_user_sgpr_private_segment_size 0
		.amdhsa_uses_dynamic_stack 0
		.amdhsa_system_sgpr_private_segment_wavefront_offset 0
		.amdhsa_system_sgpr_workgroup_id_x 1
		.amdhsa_system_sgpr_workgroup_id_y 0
		.amdhsa_system_sgpr_workgroup_id_z 0
		.amdhsa_system_sgpr_workgroup_info 0
		.amdhsa_system_vgpr_workitem_id 0
		.amdhsa_next_free_vgpr 53
		.amdhsa_next_free_sgpr 32
		.amdhsa_reserve_vcc 1
		.amdhsa_reserve_flat_scratch 0
		.amdhsa_float_round_mode_32 0
		.amdhsa_float_round_mode_16_64 0
		.amdhsa_float_denorm_mode_32 3
		.amdhsa_float_denorm_mode_16_64 3
		.amdhsa_dx10_clamp 1
		.amdhsa_ieee_mode 1
		.amdhsa_fp16_overflow 0
		.amdhsa_exception_fp_ieee_invalid_op 0
		.amdhsa_exception_fp_denorm_src 0
		.amdhsa_exception_fp_ieee_div_zero 0
		.amdhsa_exception_fp_ieee_overflow 0
		.amdhsa_exception_fp_ieee_underflow 0
		.amdhsa_exception_fp_ieee_inexact 0
		.amdhsa_exception_int_div_zero 0
	.end_amdhsa_kernel
	.text
.Lfunc_end0:
	.size	fft_rtc_fwd_len800_factors_16_5_10_wgs_160_tpt_160_halfLds_half_op_CI_CI_sbrr_dirReg, .Lfunc_end0-fft_rtc_fwd_len800_factors_16_5_10_wgs_160_tpt_160_halfLds_half_op_CI_CI_sbrr_dirReg
                                        ; -- End function
	.section	.AMDGPU.csdata,"",@progbits
; Kernel info:
; codeLenInByte = 6680
; NumSgprs: 36
; NumVgprs: 53
; ScratchSize: 0
; MemoryBound: 0
; FloatMode: 240
; IeeeMode: 1
; LDSByteSize: 0 bytes/workgroup (compile time only)
; SGPRBlocks: 4
; VGPRBlocks: 13
; NumSGPRsForWavesPerEU: 36
; NumVGPRsForWavesPerEU: 53
; Occupancy: 4
; WaveLimiterHint : 1
; COMPUTE_PGM_RSRC2:SCRATCH_EN: 0
; COMPUTE_PGM_RSRC2:USER_SGPR: 6
; COMPUTE_PGM_RSRC2:TRAP_HANDLER: 0
; COMPUTE_PGM_RSRC2:TGID_X_EN: 1
; COMPUTE_PGM_RSRC2:TGID_Y_EN: 0
; COMPUTE_PGM_RSRC2:TGID_Z_EN: 0
; COMPUTE_PGM_RSRC2:TIDIG_COMP_CNT: 0
	.type	__hip_cuid_c9e277ddff74e7b6,@object ; @__hip_cuid_c9e277ddff74e7b6
	.section	.bss,"aw",@nobits
	.globl	__hip_cuid_c9e277ddff74e7b6
__hip_cuid_c9e277ddff74e7b6:
	.byte	0                               ; 0x0
	.size	__hip_cuid_c9e277ddff74e7b6, 1

	.ident	"AMD clang version 19.0.0git (https://github.com/RadeonOpenCompute/llvm-project roc-6.4.0 25133 c7fe45cf4b819c5991fe208aaa96edf142730f1d)"
	.section	".note.GNU-stack","",@progbits
	.addrsig
	.addrsig_sym __hip_cuid_c9e277ddff74e7b6
	.amdgpu_metadata
---
amdhsa.kernels:
  - .args:
      - .actual_access:  read_only
        .address_space:  global
        .offset:         0
        .size:           8
        .value_kind:     global_buffer
      - .offset:         8
        .size:           8
        .value_kind:     by_value
      - .actual_access:  read_only
        .address_space:  global
        .offset:         16
        .size:           8
        .value_kind:     global_buffer
      - .actual_access:  read_only
        .address_space:  global
        .offset:         24
        .size:           8
        .value_kind:     global_buffer
      - .actual_access:  read_only
        .address_space:  global
        .offset:         32
        .size:           8
        .value_kind:     global_buffer
      - .offset:         40
        .size:           8
        .value_kind:     by_value
      - .actual_access:  read_only
        .address_space:  global
        .offset:         48
        .size:           8
        .value_kind:     global_buffer
      - .actual_access:  read_only
        .address_space:  global
        .offset:         56
        .size:           8
        .value_kind:     global_buffer
      - .offset:         64
        .size:           4
        .value_kind:     by_value
      - .actual_access:  read_only
        .address_space:  global
        .offset:         72
        .size:           8
        .value_kind:     global_buffer
      - .actual_access:  read_only
        .address_space:  global
        .offset:         80
        .size:           8
        .value_kind:     global_buffer
      - .actual_access:  read_only
        .address_space:  global
        .offset:         88
        .size:           8
        .value_kind:     global_buffer
      - .actual_access:  write_only
        .address_space:  global
        .offset:         96
        .size:           8
        .value_kind:     global_buffer
    .group_segment_fixed_size: 0
    .kernarg_segment_align: 8
    .kernarg_segment_size: 104
    .language:       OpenCL C
    .language_version:
      - 2
      - 0
    .max_flat_workgroup_size: 160
    .name:           fft_rtc_fwd_len800_factors_16_5_10_wgs_160_tpt_160_halfLds_half_op_CI_CI_sbrr_dirReg
    .private_segment_fixed_size: 0
    .sgpr_count:     36
    .sgpr_spill_count: 0
    .symbol:         fft_rtc_fwd_len800_factors_16_5_10_wgs_160_tpt_160_halfLds_half_op_CI_CI_sbrr_dirReg.kd
    .uniform_work_group_size: 1
    .uses_dynamic_stack: false
    .vgpr_count:     53
    .vgpr_spill_count: 0
    .wavefront_size: 64
amdhsa.target:   amdgcn-amd-amdhsa--gfx906
amdhsa.version:
  - 1
  - 2
...

	.end_amdgpu_metadata
